;; amdgpu-corpus repo=ROCm/rocFFT kind=compiled arch=gfx1030 opt=O3
	.text
	.amdgcn_target "amdgcn-amd-amdhsa--gfx1030"
	.amdhsa_code_object_version 6
	.protected	fft_rtc_fwd_len52_factors_13_4_wgs_208_tpt_13_half_op_CI_CI_sbcc_twdbase6_3step ; -- Begin function fft_rtc_fwd_len52_factors_13_4_wgs_208_tpt_13_half_op_CI_CI_sbcc_twdbase6_3step
	.globl	fft_rtc_fwd_len52_factors_13_4_wgs_208_tpt_13_half_op_CI_CI_sbcc_twdbase6_3step
	.p2align	8
	.type	fft_rtc_fwd_len52_factors_13_4_wgs_208_tpt_13_half_op_CI_CI_sbcc_twdbase6_3step,@function
fft_rtc_fwd_len52_factors_13_4_wgs_208_tpt_13_half_op_CI_CI_sbcc_twdbase6_3step: ; @fft_rtc_fwd_len52_factors_13_4_wgs_208_tpt_13_half_op_CI_CI_sbcc_twdbase6_3step
; %bb.0:
	s_clause 0x1
	s_load_dwordx8 s[8:15], s[4:5], 0x8
	s_load_dwordx2 s[26:27], s[4:5], 0x28
	s_mov_b32 s0, exec_lo
	v_cmpx_gt_u32_e32 0xc0, v0
	s_cbranch_execz .LBB0_2
; %bb.1:
	v_lshlrev_b32_e32 v1, 2, v0
	s_waitcnt lgkmcnt(0)
	global_load_dword v2, v1, s[8:9]
	v_add_nc_u32_e32 v1, 0, v1
	s_waitcnt vmcnt(0)
	ds_write_b32 v1, v2 offset:3328
.LBB0_2:
	s_or_b32 exec_lo, exec_lo, s0
	s_waitcnt lgkmcnt(0)
	s_load_dwordx2 s[28:29], s[12:13], 0x8
	s_mov_b32 s7, 0
	s_mov_b64 s[8:9], 0
	s_waitcnt lgkmcnt(0)
	s_add_u32 s0, s28, -1
	s_addc_u32 s1, s29, -1
	s_lshr_b64 s[0:1], s[0:1], 4
	s_add_u32 s30, s0, 1
	s_addc_u32 s31, s1, 0
	v_cmp_lt_u64_e64 s0, s[6:7], s[30:31]
	s_and_b32 vcc_lo, exec_lo, s0
	s_cbranch_vccnz .LBB0_4
; %bb.3:
	v_cvt_f32_u32_e32 v1, s30
	s_sub_i32 s1, 0, s30
	s_mov_b32 s9, s7
	v_rcp_iflag_f32_e32 v1, v1
	v_mul_f32_e32 v1, 0x4f7ffffe, v1
	v_cvt_u32_f32_e32 v1, v1
	v_readfirstlane_b32 s0, v1
	s_mul_i32 s1, s1, s0
	s_mul_hi_u32 s1, s0, s1
	s_add_i32 s0, s0, s1
	s_mul_hi_u32 s0, s6, s0
	s_mul_i32 s1, s0, s30
	s_add_i32 s2, s0, 1
	s_sub_i32 s1, s6, s1
	s_sub_i32 s3, s1, s30
	s_cmp_ge_u32 s1, s30
	s_cselect_b32 s0, s2, s0
	s_cselect_b32 s1, s3, s1
	s_add_i32 s2, s0, 1
	s_cmp_ge_u32 s1, s30
	s_cselect_b32 s8, s2, s0
.LBB0_4:
	s_load_dwordx4 s[20:23], s[14:15], 0x0
	s_load_dwordx4 s[0:3], s[26:27], 0x0
	s_mul_i32 s16, s8, s31
	s_mul_hi_u32 s17, s8, s30
	s_mul_i32 s18, s8, s30
	s_add_i32 s17, s17, s16
	s_sub_u32 s34, s6, s18
	s_subb_u32 s35, 0, s17
	s_clause 0x1
	s_load_dwordx4 s[16:19], s[4:5], 0x60
	s_load_dwordx2 s[24:25], s[4:5], 0x0
	v_alignbit_b32 v1, s35, s34, 28
	s_lshl_b64 s[4:5], s[34:35], 4
	v_cmp_lt_u64_e64 s33, s[10:11], 3
	s_and_b32 vcc_lo, exec_lo, s33
	s_waitcnt lgkmcnt(0)
	v_mul_lo_u32 v2, s22, v1
	v_mul_lo_u32 v1, s2, v1
	s_mul_hi_u32 s34, s22, s4
	s_mul_hi_u32 s37, s2, s4
	s_mul_i32 s35, s23, s4
	s_mul_i32 s36, s22, s4
	;; [unrolled: 1-line block ×3, first 2 shown]
	v_mov_b32_e32 v3, s36
	v_add_nc_u32_e32 v2, s34, v2
	v_add_nc_u32_e32 v5, s37, v1
	s_mul_i32 s34, s2, s4
	v_mov_b32_e32 v1, s34
	v_add_nc_u32_e32 v4, s35, v2
	v_add_nc_u32_e32 v2, s38, v5
	s_cbranch_vccnz .LBB0_13
; %bb.5:
	s_add_u32 s34, s26, 16
	s_addc_u32 s35, s27, 0
	s_add_u32 s36, s14, 16
	s_addc_u32 s37, s15, 0
	;; [unrolled: 2-line block ×3, first 2 shown]
	s_mov_b64 s[38:39], 2
	s_mov_b32 s40, 0
	s_branch .LBB0_7
.LBB0_6:                                ;   in Loop: Header=BB0_7 Depth=1
	s_load_dwordx2 s[46:47], s[36:37], 0x0
	s_load_dwordx2 s[48:49], s[34:35], 0x0
	s_mul_i32 s31, s42, s31
	s_mul_hi_u32 s33, s42, s30
	s_mul_i32 s41, s43, s30
	s_mul_i32 s43, s44, s43
	s_mul_hi_u32 s50, s44, s42
	s_mul_i32 s51, s45, s42
	s_add_i32 s31, s33, s31
	s_add_i32 s33, s50, s43
	s_mul_i32 s52, s44, s42
	s_add_i32 s31, s31, s41
	s_add_i32 s33, s33, s51
	s_sub_u32 s8, s8, s52
	s_subb_u32 s9, s9, s33
	s_mul_i32 s30, s42, s30
	s_waitcnt lgkmcnt(0)
	s_mul_i32 s33, s46, s9
	s_mul_hi_u32 s41, s46, s8
	s_mul_i32 s43, s46, s8
	s_mul_i32 s9, s48, s9
	s_mul_hi_u32 s46, s48, s8
	s_mul_i32 s42, s47, s8
	s_add_i32 s33, s41, s33
	s_add_i32 s9, s46, s9
	s_mul_i32 s41, s49, s8
	s_add_i32 s33, s33, s42
	s_add_i32 s9, s9, s41
	v_add_co_u32 v3, vcc_lo, s43, v3
	s_add_u32 s38, s38, 1
	s_mul_i32 s8, s48, s8
	s_addc_u32 s39, s39, 0
	v_add_co_ci_u32_e32 v4, vcc_lo, s33, v4, vcc_lo
	v_add_co_u32 v1, vcc_lo, s8, v1
	v_cmp_ge_u64_e64 s8, s[38:39], s[10:11]
	s_add_u32 s34, s34, 8
	s_addc_u32 s35, s35, 0
	v_add_co_ci_u32_e32 v2, vcc_lo, s9, v2, vcc_lo
	s_add_u32 s36, s36, 8
	s_addc_u32 s37, s37, 0
	s_add_u32 s12, s12, 8
	s_addc_u32 s13, s13, 0
	s_and_b32 vcc_lo, exec_lo, s8
	s_mov_b64 s[8:9], s[44:45]
	s_cbranch_vccnz .LBB0_11
.LBB0_7:                                ; =>This Inner Loop Header: Depth=1
	s_load_dwordx2 s[42:43], s[12:13], 0x0
	s_mov_b32 s33, -1
	s_waitcnt lgkmcnt(0)
	s_or_b64 s[44:45], s[8:9], s[42:43]
	s_mov_b32 s41, s45
                                        ; implicit-def: $sgpr44_sgpr45
	s_cmp_lg_u64 s[40:41], 0
	s_cbranch_scc0 .LBB0_9
; %bb.8:                                ;   in Loop: Header=BB0_7 Depth=1
	v_cvt_f32_u32_e32 v5, s42
	v_cvt_f32_u32_e32 v6, s43
	s_sub_u32 s44, 0, s42
	s_subb_u32 s45, 0, s43
	v_fmac_f32_e32 v5, 0x4f800000, v6
	v_rcp_f32_e32 v5, v5
	v_mul_f32_e32 v5, 0x5f7ffffc, v5
	v_mul_f32_e32 v6, 0x2f800000, v5
	v_trunc_f32_e32 v6, v6
	v_fmac_f32_e32 v5, 0xcf800000, v6
	v_cvt_u32_f32_e32 v6, v6
	v_cvt_u32_f32_e32 v5, v5
	v_readfirstlane_b32 s33, v6
	v_readfirstlane_b32 s41, v5
	s_mul_i32 s46, s44, s33
	s_mul_hi_u32 s48, s44, s41
	s_mul_i32 s47, s45, s41
	s_add_i32 s46, s48, s46
	s_mul_i32 s49, s44, s41
	s_add_i32 s46, s46, s47
	s_mul_hi_u32 s48, s41, s49
	s_mul_hi_u32 s50, s33, s49
	s_mul_i32 s47, s33, s49
	s_mul_hi_u32 s49, s41, s46
	s_mul_i32 s41, s41, s46
	s_mul_hi_u32 s51, s33, s46
	s_add_u32 s41, s48, s41
	s_addc_u32 s48, 0, s49
	s_add_u32 s41, s41, s47
	s_mul_i32 s46, s33, s46
	s_addc_u32 s41, s48, s50
	s_addc_u32 s47, s51, 0
	s_add_u32 s41, s41, s46
	s_addc_u32 s46, 0, s47
	v_add_co_u32 v5, s41, v5, s41
	s_cmp_lg_u32 s41, 0
	s_addc_u32 s33, s33, s46
	v_readfirstlane_b32 s41, v5
	s_mul_i32 s46, s44, s33
	s_mul_hi_u32 s47, s44, s41
	s_mul_i32 s45, s45, s41
	s_add_i32 s46, s47, s46
	s_mul_i32 s44, s44, s41
	s_add_i32 s46, s46, s45
	s_mul_hi_u32 s47, s33, s44
	s_mul_i32 s48, s33, s44
	s_mul_hi_u32 s44, s41, s44
	s_mul_hi_u32 s49, s41, s46
	s_mul_i32 s41, s41, s46
	s_mul_hi_u32 s45, s33, s46
	s_add_u32 s41, s44, s41
	s_addc_u32 s44, 0, s49
	s_add_u32 s41, s41, s48
	s_mul_i32 s46, s33, s46
	s_addc_u32 s41, s44, s47
	s_addc_u32 s44, s45, 0
	s_add_u32 s41, s41, s46
	s_addc_u32 s44, 0, s44
	v_add_co_u32 v5, s41, v5, s41
	s_cmp_lg_u32 s41, 0
	s_addc_u32 s33, s33, s44
	v_readfirstlane_b32 s41, v5
	s_mul_i32 s45, s8, s33
	s_mul_hi_u32 s44, s8, s33
	s_mul_hi_u32 s46, s9, s33
	s_mul_i32 s33, s9, s33
	s_mul_hi_u32 s47, s8, s41
	s_mul_hi_u32 s48, s9, s41
	s_mul_i32 s41, s9, s41
	s_add_u32 s45, s47, s45
	s_addc_u32 s44, 0, s44
	s_add_u32 s41, s45, s41
	s_addc_u32 s41, s44, s48
	s_addc_u32 s44, s46, 0
	s_add_u32 s41, s41, s33
	s_addc_u32 s44, 0, s44
	s_mul_hi_u32 s33, s42, s41
	s_mul_i32 s46, s42, s44
	s_mul_i32 s47, s42, s41
	s_add_i32 s33, s33, s46
	v_sub_co_u32 v5, s46, s8, s47
	s_mul_i32 s45, s43, s41
	s_add_i32 s33, s33, s45
	v_sub_co_u32 v6, s47, v5, s42
	s_sub_i32 s45, s9, s33
	s_cmp_lg_u32 s46, 0
	s_subb_u32 s45, s45, s43
	s_cmp_lg_u32 s47, 0
	v_readfirstlane_b32 s47, v6
	s_subb_u32 s45, s45, 0
	s_cmp_ge_u32 s45, s43
	s_cselect_b32 s48, -1, 0
	s_cmp_ge_u32 s47, s42
	s_cselect_b32 s47, -1, 0
	s_cmp_eq_u32 s45, s43
	s_cselect_b32 s45, s47, s48
	s_add_u32 s47, s41, 1
	s_addc_u32 s48, s44, 0
	s_add_u32 s49, s41, 2
	s_addc_u32 s50, s44, 0
	s_cmp_lg_u32 s45, 0
	s_cselect_b32 s47, s49, s47
	s_cselect_b32 s45, s50, s48
	s_cmp_lg_u32 s46, 0
	v_readfirstlane_b32 s46, v5
	s_subb_u32 s33, s9, s33
	s_cmp_ge_u32 s33, s43
	s_cselect_b32 s48, -1, 0
	s_cmp_ge_u32 s46, s42
	s_cselect_b32 s46, -1, 0
	s_cmp_eq_u32 s33, s43
	s_cselect_b32 s33, s46, s48
	s_cmp_lg_u32 s33, 0
	s_mov_b32 s33, 0
	s_cselect_b32 s45, s45, s44
	s_cselect_b32 s44, s47, s41
.LBB0_9:                                ;   in Loop: Header=BB0_7 Depth=1
	s_andn2_b32 vcc_lo, exec_lo, s33
	s_cbranch_vccnz .LBB0_6
; %bb.10:                               ;   in Loop: Header=BB0_7 Depth=1
	v_cvt_f32_u32_e32 v5, s42
	s_sub_i32 s41, 0, s42
	v_rcp_iflag_f32_e32 v5, v5
	v_mul_f32_e32 v5, 0x4f7ffffe, v5
	v_cvt_u32_f32_e32 v5, v5
	v_readfirstlane_b32 s33, v5
	s_mul_i32 s41, s41, s33
	s_mul_hi_u32 s41, s33, s41
	s_add_i32 s33, s33, s41
	s_mul_hi_u32 s33, s8, s33
	s_mul_i32 s41, s33, s42
	s_add_i32 s44, s33, 1
	s_sub_i32 s41, s8, s41
	s_sub_i32 s45, s41, s42
	s_cmp_ge_u32 s41, s42
	s_cselect_b32 s33, s44, s33
	s_cselect_b32 s41, s45, s41
	s_add_i32 s44, s33, 1
	s_cmp_ge_u32 s41, s42
	s_mov_b32 s45, s40
	s_cselect_b32 s44, s44, s33
	s_branch .LBB0_6
.LBB0_11:
	v_cmp_lt_u64_e64 s7, s[6:7], s[30:31]
	s_mov_b64 s[8:9], 0
	s_and_b32 vcc_lo, exec_lo, s7
	s_cbranch_vccnz .LBB0_13
; %bb.12:
	v_cvt_f32_u32_e32 v5, s30
	s_sub_i32 s8, 0, s30
	v_rcp_iflag_f32_e32 v5, v5
	v_mul_f32_e32 v5, 0x4f7ffffe, v5
	v_cvt_u32_f32_e32 v5, v5
	v_readfirstlane_b32 s7, v5
	s_mul_i32 s8, s8, s7
	s_mul_hi_u32 s8, s7, s8
	s_add_i32 s7, s7, s8
	s_mul_hi_u32 s7, s6, s7
	s_mul_i32 s8, s7, s30
	s_sub_i32 s6, s6, s8
	s_add_i32 s8, s7, 1
	s_sub_i32 s9, s6, s30
	s_cmp_ge_u32 s6, s30
	s_cselect_b32 s7, s8, s7
	s_cselect_b32 s6, s9, s6
	s_add_i32 s8, s7, 1
	s_cmp_ge_u32 s6, s30
	s_cselect_b32 s8, s8, s7
.LBB0_13:
	v_and_b32_e32 v18, 15, v0
	s_lshl_b64 s[10:11], s[10:11], 3
	v_mov_b32_e32 v6, s5
	s_add_u32 s6, s26, s10
	s_addc_u32 s7, s27, s11
	v_or_b32_e32 v5, s4, v18
	s_add_u32 s12, s4, 16
	v_lshrrev_b32_e32 v19, 4, v0
	s_addc_u32 s13, s5, 0
	v_mul_u32_u24_e32 v20, 0xd0, v18
	v_cmp_le_u64_e64 s5, s[12:13], s[28:29]
	v_cmp_gt_u64_e32 vcc_lo, s[28:29], v[5:6]
	v_lshlrev_b32_e32 v21, 2, v19
	v_add_nc_u32_e32 v17, 13, v19
	v_add_nc_u32_e32 v16, 26, v19
	;; [unrolled: 1-line block ×3, first 2 shown]
	s_or_b32 s5, s5, vcc_lo
	s_and_saveexec_b32 s9, s5
	s_cbranch_execz .LBB0_15
; %bb.14:
	s_add_u32 s10, s14, s10
	s_addc_u32 s11, s15, s11
	v_mad_u64_u32 v[5:6], null, s22, v18, 0
	s_load_dwordx2 s[10:11], s[10:11], 0x0
	v_mad_u64_u32 v[7:8], null, s20, v19, 0
	v_mad_u64_u32 v[9:10], null, s20, v17, 0
	;; [unrolled: 1-line block ×3, first 2 shown]
	v_lshlrev_b64 v[3:4], 2, v[3:4]
	v_mad_u64_u32 v[13:14], null, s23, v18, v[6:7]
	v_mad_u64_u32 v[22:23], null, s21, v19, v[8:9]
	;; [unrolled: 1-line block ×3, first 2 shown]
	v_mov_b32_e32 v6, v13
	v_mad_u64_u32 v[13:14], null, s20, v15, 0
	s_waitcnt lgkmcnt(0)
	s_mul_i32 s11, s11, s8
	s_mul_hi_u32 s12, s10, s8
	s_mul_i32 s10, s10, s8
	s_add_i32 s11, s12, s11
	v_mov_b32_e32 v8, v22
	s_lshl_b64 s[10:11], s[10:11], 2
	v_mov_b32_e32 v10, v23
	s_add_u32 s10, s16, s10
	s_addc_u32 s11, s17, s11
	v_add_co_u32 v22, vcc_lo, s10, v3
	v_add_co_ci_u32_e32 v24, vcc_lo, s11, v4, vcc_lo
	v_lshlrev_b64 v[3:4], 2, v[5:6]
	v_mad_u64_u32 v[5:6], null, s21, v16, v[12:13]
	v_mov_b32_e32 v6, v14
	v_add_co_u32 v22, vcc_lo, v22, v3
	v_add_co_ci_u32_e32 v23, vcc_lo, v24, v4, vcc_lo
	v_lshlrev_b64 v[3:4], 2, v[7:8]
	v_mad_u64_u32 v[6:7], null, s21, v15, v[6:7]
	v_lshlrev_b64 v[7:8], 2, v[9:10]
	v_mov_b32_e32 v12, v5
	v_add_co_u32 v3, vcc_lo, v22, v3
	v_add_co_ci_u32_e32 v4, vcc_lo, v23, v4, vcc_lo
	v_mov_b32_e32 v14, v6
	v_lshlrev_b64 v[9:10], 2, v[11:12]
	v_add_co_u32 v5, vcc_lo, v22, v7
	v_add_co_ci_u32_e32 v6, vcc_lo, v23, v8, vcc_lo
	v_lshlrev_b64 v[7:8], 2, v[13:14]
	v_add_co_u32 v9, vcc_lo, v22, v9
	v_add_co_ci_u32_e32 v10, vcc_lo, v23, v10, vcc_lo
	v_add_co_u32 v7, vcc_lo, v22, v7
	v_add_co_ci_u32_e32 v8, vcc_lo, v23, v8, vcc_lo
	s_clause 0x3
	global_load_dword v3, v[3:4], off
	global_load_dword v4, v[5:6], off
	;; [unrolled: 1-line block ×4, first 2 shown]
	v_add3_u32 v7, 0, v20, v21
	s_waitcnt vmcnt(2)
	ds_write2_b32 v7, v3, v4 offset1:13
	s_waitcnt vmcnt(0)
	ds_write2_b32 v7, v5, v6 offset0:26 offset1:39
.LBB0_15:
	s_or_b32 exec_lo, exec_lo, s9
	v_mul_hi_u32 v23, 0x13b13b14, v0
	s_waitcnt lgkmcnt(0)
	s_barrier
	buffer_gl0_inv
	s_mov_b32 s9, exec_lo
	v_mul_u32_u24_e32 v3, 13, v23
	v_and_b32_e32 v4, 15, v23
	v_sub_nc_u32_e32 v24, v0, v3
	v_mul_u32_u24_e32 v0, 52, v4
	v_lshlrev_b32_e32 v3, 2, v24
	v_lshlrev_b32_e32 v34, 2, v0
	v_add_nc_u32_e32 v35, 0, v3
	v_add3_u32 v22, 0, v34, v3
	v_add_nc_u32_e32 v0, v35, v34
	ds_read_b32 v25, v22
	ds_read2_b32 v[13:14], v0 offset0:4 offset1:8
	ds_read2_b32 v[11:12], v0 offset0:12 offset1:16
	;; [unrolled: 1-line block ×6, first 2 shown]
	s_waitcnt lgkmcnt(0)
	s_barrier
	buffer_gl0_inv
	v_cmpx_gt_u32_e32 4, v24
	s_cbranch_execz .LBB0_17
; %bb.16:
	v_pk_add_f16 v26, v25, v13
	v_pk_add_f16 v30, v13, v4 neg_lo:[0,1] neg_hi:[0,1]
	v_pk_add_f16 v33, v4, v13
	v_mul_i32_i24_e32 v36, 48, v24
	v_pk_add_f16 v28, v14, v3 neg_lo:[0,1] neg_hi:[0,1]
	v_pk_add_f16 v13, v26, v14
	v_pk_add_f16 v32, v3, v14
	v_pk_add_f16 v26, v11, v6 neg_lo:[0,1] neg_hi:[0,1]
	v_pk_add_f16 v31, v6, v11
	v_pk_add_f16 v14, v12, v5 neg_lo:[0,1] neg_hi:[0,1]
	v_pk_add_f16 v37, v13, v11
	v_pk_add_f16 v29, v5, v12
	v_pk_add_f16 v11, v10, v7 neg_lo:[0,1] neg_hi:[0,1]
	v_pk_add_f16 v13, v9, v8 neg_lo:[0,1] neg_hi:[0,1]
	v_pk_add_f16 v27, v8, v9
	v_pk_add_f16 v37, v37, v12
	;; [unrolled: 1-line block ×3, first 2 shown]
	v_mov_b32_e32 v38, 0xb94e
	v_mov_b32_e32 v39, 0x3bf1
	v_mul_f16_e32 v41, 0xba95, v26
	v_pk_add_f16 v37, v37, v9
	v_add3_u32 v9, v35, v36, v34
	v_mul_f16_e32 v34, 0xb94e, v30
	v_lshrrev_b32_e32 v35, 16, v33
	v_mul_f16_e32 v36, 0x3bf1, v28
	v_pk_add_f16 v10, v37, v10
	v_lshrrev_b32_e32 v37, 16, v32
	v_lshrrev_b32_e32 v42, 16, v31
	v_fmamk_f16 v44, v35, 0xb9fd, v34
	v_mul_f16_sdwa v47, v30, v38 dst_sel:DWORD dst_unused:UNUSED_PAD src0_sel:WORD_1 src1_sel:DWORD
	v_pk_add_f16 v7, v10, v7
	v_mov_b32_e32 v40, 0xba95
	v_mul_f16_sdwa v39, v28, v39 dst_sel:DWORD dst_unused:UNUSED_PAD src0_sel:WORD_1 src1_sel:DWORD
	v_add_f16_sdwa v44, v25, v44 dst_sel:DWORD dst_unused:UNUSED_PAD src0_sel:WORD_1 src1_sel:DWORD
	v_fma_f16 v48, v33, 0xb9fd, -v47
	v_pk_add_f16 v7, v7, v8
	v_fmamk_f16 v8, v37, 0x2fb7, v36
	v_mul_f16_e32 v43, 0x33a8, v14
	v_lshrrev_b32_e32 v10, 16, v29
	v_add_f16_e32 v48, v25, v48
	v_pk_add_f16 v5, v7, v5
	v_fmamk_f16 v7, v42, 0x388b, v41
	v_add_f16_e32 v8, v8, v44
	v_mul_f16_sdwa v44, v26, v40 dst_sel:DWORD dst_unused:UNUSED_PAD src0_sel:WORD_1 src1_sel:DWORD
	v_mul_f16_e32 v45, 0x3770, v13
	v_pk_add_f16 v5, v5, v6
	v_lshrrev_b32_e32 v46, 16, v27
	v_add_f16_e32 v7, v7, v8
	v_fma_f16 v8, v32, 0x2fb7, -v39
	v_fmamk_f16 v6, v10, 0xbbc4, v43
	v_pk_add_f16 v3, v5, v3
	v_mov_b32_e32 v5, 0x33a8
	v_mov_b32_e32 v50, 0x3770
	v_add_f16_e32 v8, v8, v48
	v_fma_f16 v48, v31, 0x388b, -v44
	v_add_f16_e32 v6, v6, v7
	v_mul_f16_sdwa v49, v14, v5 dst_sel:DWORD dst_unused:UNUSED_PAD src0_sel:WORD_1 src1_sel:DWORD
	v_fmamk_f16 v7, v46, 0x3b15, v45
	v_mul_f16_e32 v51, 0xbb7b, v11
	v_lshrrev_b32_e32 v52, 16, v12
	v_add_f16_e32 v8, v48, v8
	v_fma_f16 v48, v29, 0xbbc4, -v49
	v_mul_f16_sdwa v53, v13, v50 dst_sel:DWORD dst_unused:UNUSED_PAD src0_sel:WORD_1 src1_sel:DWORD
	v_mul_f16_e32 v54, 0xbb7b, v30
	v_add_f16_e32 v6, v7, v6
	v_fmamk_f16 v7, v52, 0xb5ac, v51
	v_add_f16_e32 v8, v48, v8
	v_fma_f16 v48, v27, 0x3b15, -v53
	v_mov_b32_e32 v55, 0xbb7b
	v_fmamk_f16 v56, v35, 0xb5ac, v54
	v_pk_add_f16 v3, v3, v4
	v_add_f16_e32 v4, v7, v6
	v_add_f16_e32 v6, v48, v8
	v_mov_b32_e32 v57, 0x394e
	v_add_f16_sdwa v48, v25, v56 dst_sel:DWORD dst_unused:UNUSED_PAD src0_sel:WORD_1 src1_sel:DWORD
	v_mul_f16_sdwa v56, v30, v55 dst_sel:DWORD dst_unused:UNUSED_PAD src0_sel:WORD_1 src1_sel:DWORD
	v_mul_f16_e32 v7, 0x394e, v28
	v_mul_f16_sdwa v8, v11, v55 dst_sel:DWORD dst_unused:UNUSED_PAD src0_sel:WORD_1 src1_sel:DWORD
	v_mul_f16_sdwa v57, v28, v57 dst_sel:DWORD dst_unused:UNUSED_PAD src0_sel:WORD_1 src1_sel:DWORD
	;; [unrolled: 1-line block ×3, first 2 shown]
	v_fma_f16 v61, v33, 0xb5ac, -v56
	v_fmamk_f16 v58, v37, 0xb9fd, v7
	v_mul_f16_e32 v59, 0x3770, v26
	v_fma_f16 v63, v32, 0xb9fd, -v57
	v_fma_f16 v60, v12, 0xb5ac, -v8
	v_add_f16_e32 v61, v25, v61
	v_mov_b32_e32 v65, 0xbbf1
	v_add_f16_e32 v48, v58, v48
	v_fmamk_f16 v58, v42, 0x3b15, v59
	v_mul_f16_e32 v62, 0xbbf1, v14
	v_add_f16_e32 v61, v63, v61
	v_fma_f16 v63, v31, 0x3b15, -v64
	v_mul_f16_sdwa v66, v14, v65 dst_sel:DWORD dst_unused:UNUSED_PAD src0_sel:WORD_1 src1_sel:DWORD
	v_add_f16_e32 v6, v60, v6
	v_add_f16_e32 v48, v58, v48
	v_fmamk_f16 v58, v10, 0x2fb7, v62
	v_add_f16_e32 v60, v63, v61
	v_mul_f16_e32 v63, 0xbbf1, v30
	v_fma_f16 v61, v29, 0x2fb7, -v66
	v_mul_f16_sdwa v5, v13, v5 dst_sel:DWORD dst_unused:UNUSED_PAD src0_sel:WORD_1 src1_sel:DWORD
	v_mul_f16_e32 v71, 0xb3a8, v28
	v_add_f16_e32 v48, v58, v48
	v_fmamk_f16 v70, v35, 0x2fb7, v63
	v_mul_f16_e32 v58, 0x33a8, v13
	v_add_f16_e32 v60, v61, v60
	v_fma_f16 v61, v27, 0xbbc4, -v5
	v_fmamk_f16 v72, v37, 0xbbc4, v71
	v_add_f16_sdwa v70, v25, v70 dst_sel:DWORD dst_unused:UNUSED_PAD src0_sel:WORD_1 src1_sel:DWORD
	v_mul_f16_e32 v73, 0x3b7b, v26
	v_fmamk_f16 v68, v46, 0xbbc4, v58
	v_mul_f16_e32 v69, 0x3a95, v11
	v_add_f16_e32 v60, v61, v60
	v_add_f16_e32 v61, v72, v70
	v_fmamk_f16 v70, v42, 0xb5ac, v73
	v_mul_f16_sdwa v72, v30, v65 dst_sel:DWORD dst_unused:UNUSED_PAD src0_sel:WORD_1 src1_sel:DWORD
	v_mov_b32_e32 v74, 0xb3a8
	v_mul_f16_e32 v76, 0x3770, v14
	v_mov_b32_e32 v67, 0x3a95
	v_add_f16_e32 v48, v68, v48
	v_fmamk_f16 v68, v52, 0x388b, v69
	v_add_f16_e32 v61, v70, v61
	v_fma_f16 v70, v33, 0x2fb7, -v72
	v_mul_f16_sdwa v77, v28, v74 dst_sel:DWORD dst_unused:UNUSED_PAD src0_sel:WORD_1 src1_sel:DWORD
	v_mov_b32_e32 v78, 0x3b7b
	v_fmamk_f16 v79, v10, 0x3b15, v76
	v_mul_f16_e32 v80, 0xba95, v13
	v_fma_f16 v34, v35, 0xb9fd, -v34
	v_mul_f16_sdwa v67, v11, v67 dst_sel:DWORD dst_unused:UNUSED_PAD src0_sel:WORD_1 src1_sel:DWORD
	v_add_f16_e32 v70, v25, v70
	v_fma_f16 v81, v32, 0xbbc4, -v77
	v_mul_f16_sdwa v78, v26, v78 dst_sel:DWORD dst_unused:UNUSED_PAD src0_sel:WORD_1 src1_sel:DWORD
	v_add_f16_e32 v48, v68, v48
	v_add_f16_e32 v61, v79, v61
	v_fmamk_f16 v68, v46, 0x388b, v80
	v_add_f16_sdwa v34, v25, v34 dst_sel:DWORD dst_unused:UNUSED_PAD src0_sel:WORD_1 src1_sel:DWORD
	v_fma_f16 v36, v37, 0x2fb7, -v36
	v_fma_f16 v75, v12, 0x388b, -v67
	v_add_f16_e32 v70, v81, v70
	v_fma_f16 v79, v31, 0xb5ac, -v78
	v_mul_f16_sdwa v50, v14, v50 dst_sel:DWORD dst_unused:UNUSED_PAD src0_sel:WORD_1 src1_sel:DWORD
	v_add_f16_e32 v61, v68, v61
	v_mul_f16_e32 v68, 0xba95, v30
	v_add_f16_e32 v34, v36, v34
	v_fma_f16 v36, v42, 0x388b, -v41
	v_add_f16_e32 v60, v75, v60
	v_add_f16_e32 v70, v79, v70
	v_fma_f16 v75, v29, 0x3b15, -v50
	v_mul_f16_sdwa v79, v13, v40 dst_sel:DWORD dst_unused:UNUSED_PAD src0_sel:WORD_1 src1_sel:DWORD
	v_fmamk_f16 v82, v35, 0x388b, v68
	v_mul_f16_e32 v83, 0xbb7b, v28
	v_add_f16_e32 v34, v36, v34
	v_fma_f16 v36, v10, 0xbbc4, -v43
	v_fmac_f16_e32 v47, 0xb9fd, v33
	v_mul_f16_e32 v81, 0xb9fd, v52
	v_add_f16_e32 v70, v75, v70
	v_fma_f16 v75, v27, 0x388b, -v79
	v_mul_f16_sdwa v84, v11, v38 dst_sel:DWORD dst_unused:UNUSED_PAD src0_sel:WORD_1 src1_sel:DWORD
	v_add_f16_sdwa v82, v25, v82 dst_sel:DWORD dst_unused:UNUSED_PAD src0_sel:WORD_1 src1_sel:DWORD
	v_fmamk_f16 v85, v37, 0xb5ac, v83
	v_add_f16_e32 v34, v36, v34
	v_fma_f16 v36, v46, 0x3b15, -v45
	v_add_f16_e32 v45, v25, v47
	v_fmac_f16_e32 v39, 0x2fb7, v32
	v_mul_f16_e32 v86, 0xb3a8, v26
	v_fmamk_f16 v87, v11, 0xb94e, v81
	v_add_f16_e32 v70, v75, v70
	v_fma_f16 v75, v12, 0xb9fd, -v84
	v_add_f16_e32 v82, v85, v82
	v_pk_mul_f16 v85, 0x3b15388b, v33
	v_fma_f16 v47, v35, 0xb5ac, -v54
	v_add_f16_e32 v34, v36, v34
	v_fma_f16 v36, v52, 0xb5ac, -v51
	v_add_f16_e32 v39, v39, v45
	v_fmac_f16_e32 v44, 0x388b, v31
	v_fmamk_f16 v88, v42, 0xbbc4, v86
	v_mul_f16_e32 v89, 0x394e, v14
	v_add_f16_e32 v61, v87, v61
	v_add_f16_e32 v70, v75, v70
	v_pk_fma_f16 v75, 0xba95b770, v30, v85 op_sel:[0,0,1] op_sel_hi:[1,1,0]
	v_pk_mul_f16 v87, 0x388bb5ac, v32
	v_pk_fma_f16 v85, 0xba95b770, v30, v85 op_sel:[0,0,1] op_sel_hi:[1,1,0] neg_lo:[0,1,0] neg_hi:[0,1,0]
	v_add_f16_sdwa v45, v25, v47 dst_sel:DWORD dst_unused:UNUSED_PAD src0_sel:WORD_1 src1_sel:DWORD
	v_fma_f16 v7, v37, 0xb9fd, -v7
	v_add_f16_e32 v34, v36, v34
	v_fmac_f16_e32 v56, 0xb5ac, v33
	v_add_f16_e32 v36, v44, v39
	v_fmac_f16_e32 v49, 0xbbc4, v29
	v_add_f16_e32 v82, v88, v82
	v_fmamk_f16 v88, v10, 0xb9fd, v89
	v_mul_f16_e32 v90, 0x3bf1, v13
	v_pk_fma_f16 v91, 0xbb7bba95, v28, v87 op_sel:[0,0,1] op_sel_hi:[1,1,0]
	v_bfi_b32 v92, 0xffff, v75, v85
	v_pk_fma_f16 v87, 0xbb7bba95, v28, v87 op_sel:[0,0,1] op_sel_hi:[1,1,0] neg_lo:[0,1,0] neg_hi:[0,1,0]
	v_pk_mul_f16 v93, 0x2fb7bbc4, v31
	v_add_f16_e32 v7, v7, v45
	v_fma_f16 v39, v42, 0x3b15, -v59
	v_add_f16_e32 v44, v25, v56
	v_fmac_f16_e32 v57, 0xb9fd, v32
	v_add_f16_e32 v36, v49, v36
	v_fmac_f16_e32 v53, 0x3b15, v27
	v_add_f16_e32 v82, v88, v82
	v_fmamk_f16 v88, v46, 0x2fb7, v90
	v_pk_add_f16 v92, v25, v92 op_sel:[1,0] op_sel_hi:[0,1]
	v_bfi_b32 v94, 0xffff, v91, v87
	v_pk_fma_f16 v95, 0xb3a8bbf1, v26, v93 op_sel:[0,0,1] op_sel_hi:[1,1,0]
	v_pk_fma_f16 v93, 0xb3a8bbf1, v26, v93 op_sel:[0,0,1] op_sel_hi:[1,1,0] neg_lo:[0,1,0] neg_hi:[0,1,0]
	v_add_f16_e32 v7, v39, v7
	v_fma_f16 v39, v10, 0x2fb7, -v62
	v_add_f16_e32 v44, v57, v44
	v_fmac_f16_e32 v64, 0x3b15, v31
	v_add_f16_e32 v36, v53, v36
	v_fmac_f16_e32 v8, 0xb5ac, v12
	v_mul_f16_e32 v97, 0x3770, v11
	v_add_f16_e32 v82, v88, v82
	v_pk_add_f16 v88, v94, v92
	v_bfi_b32 v92, 0xffff, v95, v93
	v_mov_b32_e32 v98, 0xb770
	v_add_f16_e32 v7, v39, v7
	v_fma_f16 v39, v46, 0xbbc4, -v58
	v_add_f16_e32 v44, v64, v44
	v_fmac_f16_e32 v66, 0x2fb7, v29
	v_add_f16_e32 v8, v8, v36
	v_fma_f16 v36, v35, 0x2fb7, -v63
	v_fma_f16 v35, v35, 0x388b, -v68
	v_pk_mul_f16 v96, 0xb5acb9fd, v29
	v_fmamk_f16 v100, v52, 0x3b15, v97
	v_pk_add_f16 v88, v92, v88
	v_mul_f16_sdwa v92, v30, v98 dst_sel:DWORD dst_unused:UNUSED_PAD src0_sel:WORD_1 src1_sel:DWORD
	v_add_f16_e32 v7, v39, v7
	v_add_f16_e32 v39, v66, v44
	v_fmac_f16_e32 v5, 0xbbc4, v27
	v_add_f16_sdwa v36, v25, v36 dst_sel:DWORD dst_unused:UNUSED_PAD src0_sel:WORD_1 src1_sel:DWORD
	v_fma_f16 v45, v37, 0xbbc4, -v71
	v_fma_f16 v37, v37, 0xb5ac, -v83
	v_add_f16_sdwa v35, v25, v35 dst_sel:DWORD dst_unused:UNUSED_PAD src0_sel:WORD_1 src1_sel:DWORD
	v_pk_fma_f16 v94, 0x394ebb7b, v14, v96 op_sel:[0,0,1] op_sel_hi:[1,1,0]
	v_pk_fma_f16 v96, 0x394ebb7b, v14, v96 op_sel:[0,0,1] op_sel_hi:[1,1,0] neg_lo:[0,1,0] neg_hi:[0,1,0]
	v_pk_mul_f16 v99, 0xb9fd2fb7, v27
	v_add_f16_e32 v82, v100, v82
	v_fma_f16 v100, v33, 0x3b15, -v92
	v_mul_f16_sdwa v40, v28, v40 dst_sel:DWORD dst_unused:UNUSED_PAD src0_sel:WORD_1 src1_sel:DWORD
	v_fma_f16 v47, v52, 0x388b, -v69
	v_add_f16_e32 v5, v5, v39
	v_add_f16_e32 v36, v45, v36
	v_fma_f16 v39, v42, 0xb5ac, -v73
	v_add_f16_e32 v35, v37, v35
	v_fma_f16 v37, v42, 0xbbc4, -v86
	v_fmac_f16_e32 v92, 0x3b15, v33
	v_bfi_b32 v98, 0xffff, v94, v96
	v_pk_fma_f16 v101, 0x3bf1b94e, v13, v99 op_sel:[0,0,1] op_sel_hi:[1,1,0]
	v_pk_fma_f16 v99, 0x3bf1b94e, v13, v99 op_sel:[0,0,1] op_sel_hi:[1,1,0] neg_lo:[0,1,0] neg_hi:[0,1,0]
	v_add_f16_e32 v100, v25, v100
	v_fma_f16 v103, v32, 0x388b, -v40
	v_mul_f16_sdwa v65, v26, v65 dst_sel:DWORD dst_unused:UNUSED_PAD src0_sel:WORD_1 src1_sel:DWORD
	v_add_f16_e32 v36, v39, v36
	v_fma_f16 v39, v10, 0x3b15, -v76
	v_add_f16_e32 v7, v47, v7
	v_add_f16_e32 v35, v37, v35
	v_fma_f16 v10, v10, 0xb9fd, -v89
	v_add_f16_e32 v47, v25, v92
	v_fmac_f16_e32 v40, 0x388b, v32
	v_pk_add_f16 v88, v98, v88
	v_bfi_b32 v98, 0xffff, v101, v99
	v_pk_mul_f16 v102, 0xbbc43b15, v12
	v_add_f16_e32 v100, v103, v100
	v_fma_f16 v103, v31, 0x2fb7, -v65
	v_mul_f16_sdwa v55, v14, v55 dst_sel:DWORD dst_unused:UNUSED_PAD src0_sel:WORD_1 src1_sel:DWORD
	v_fma_f16 v45, v46, 0x388b, -v80
	v_add_f16_e32 v10, v10, v35
	v_fma_f16 v35, v46, 0x2fb7, -v90
	v_pk_add_f16 v46, v25, v75 op_sel:[1,0] op_sel_hi:[0,1]
	v_add_f16_e32 v40, v40, v47
	v_fmac_f16_e32 v65, 0x2fb7, v31
	v_pk_add_f16 v88, v98, v88
	v_pk_fma_f16 v98, 0x3770b3a8, v11, v102 op_sel:[0,0,1] op_sel_hi:[1,1,0]
	v_pk_fma_f16 v104, 0x3770b3a8, v11, v102 op_sel:[0,0,1] op_sel_hi:[1,1,0] neg_lo:[0,1,0] neg_hi:[0,1,0]
	v_add_f16_e32 v100, v103, v100
	v_fma_f16 v103, v29, 0xb5ac, -v55
	v_mul_f16_sdwa v38, v13, v38 dst_sel:DWORD dst_unused:UNUSED_PAD src0_sel:WORD_1 src1_sel:DWORD
	v_fmac_f16_e32 v72, 0x2fb7, v33
	v_add_f16_e32 v10, v35, v10
	v_fma_f16 v35, v52, 0x3b15, -v97
	v_pk_add_f16 v46, v91, v46
	v_add_f16_e32 v40, v65, v40
	v_fmac_f16_e32 v55, 0xb5ac, v29
	v_pk_mul_f16 v33, 0xbbc4, v33 op_sel_hi:[0,1]
	v_bfi_b32 v41, 0xffff, v98, v104
	v_add_f16_e32 v98, v103, v100
	v_fma_f16 v100, v27, 0xb9fd, -v38
	v_add_f16_e32 v44, v25, v72
	v_fmac_f16_e32 v77, 0xbbc4, v32
	v_add_f16_e32 v10, v35, v10
	v_pk_add_f16 v35, v95, v46
	v_add_f16_e32 v40, v55, v40
	v_fmac_f16_e32 v38, 0xb9fd, v27
	v_pk_fma_f16 v46, 0xb3a8, v30, v33 op_sel:[0,0,1] op_sel_hi:[0,1,0] neg_lo:[0,1,0] neg_hi:[0,1,0]
	v_pk_mul_f16 v32, 0x3b15, v32 op_sel_hi:[0,1]
	v_pk_fma_f16 v30, 0xb3a8, v30, v33 op_sel:[0,0,1] op_sel_hi:[0,1,0]
	v_add_f16_e32 v44, v77, v44
	v_fmac_f16_e32 v78, 0xb5ac, v31
	v_add_f16_sdwa v42, v25, v85 dst_sel:DWORD dst_unused:UNUSED_PAD src0_sel:WORD_1 src1_sel:DWORD
	v_add_f16_e32 v38, v38, v40
	v_pk_add_f16 v33, v25, v46 op_sel:[1,0] op_sel_hi:[0,1]
	v_pk_fma_f16 v40, 0x3770, v28, v32 op_sel:[0,0,1] op_sel_hi:[0,1,0] neg_lo:[0,1,0] neg_hi:[0,1,0]
	v_pk_mul_f16 v31, 0xb9fd, v31 op_sel_hi:[0,1]
	v_pk_add_f16 v25, v25, v30 op_sel:[1,0] op_sel_hi:[0,1]
	v_pk_fma_f16 v28, 0x3770, v28, v32 op_sel:[0,0,1] op_sel_hi:[0,1,0]
	v_add_f16_e32 v44, v78, v44
	v_fmac_f16_e32 v50, 0x3b15, v29
	v_pk_add_f16 v32, v40, v33
	v_pk_fma_f16 v33, 0xb94e, v26, v31 op_sel:[0,0,1] op_sel_hi:[0,1,0] neg_lo:[0,1,0] neg_hi:[0,1,0]
	v_pk_mul_f16 v29, 0x388b, v29 op_sel_hi:[0,1]
	v_pk_add_f16 v25, v28, v25
	v_pk_fma_f16 v26, 0xb94e, v26, v31 op_sel:[0,0,1] op_sel_hi:[0,1,0]
	v_add_f16_e32 v44, v50, v44
	v_fmac_f16_e32 v79, 0x388b, v27
	v_mul_f16_e32 v37, 0xb94e, v11
	v_pk_add_f16 v35, v94, v35
	v_pk_add_f16 v31, v33, v32
	v_pk_fma_f16 v32, 0x3a95, v14, v29 op_sel:[0,0,1] op_sel_hi:[0,1,0] neg_lo:[0,1,0] neg_hi:[0,1,0]
	v_pk_mul_f16 v27, 0xb5ac, v27 op_sel_hi:[0,1]
	v_pk_add_f16 v25, v26, v25
	v_pk_fma_f16 v14, 0x3a95, v14, v29 op_sel:[0,0,1] op_sel_hi:[0,1,0]
	v_add_f16_e32 v42, v87, v42
	v_mul_f16_sdwa v74, v11, v74 dst_sel:DWORD dst_unused:UNUSED_PAD src0_sel:WORD_1 src1_sel:DWORD
	v_add_f16_e32 v36, v39, v36
	v_add_f16_e32 v39, v79, v44
	v_pk_mul_f16 v44, 0x3770b3a8, v11
	v_pk_add_f16 v29, v32, v31
	v_pk_fma_f16 v31, 0xbb7b, v13, v27 op_sel:[0,0,1] op_sel_hi:[0,1,0] neg_lo:[0,1,0] neg_hi:[0,1,0]
	v_pk_add_f16 v14, v14, v25
	v_pk_fma_f16 v13, 0xbb7b, v13, v27 op_sel:[0,0,1] op_sel_hi:[0,1,0]
	v_bfi_b32 v25, 0xffff, v37, v35
	v_add_f16_e32 v42, v93, v42
	v_pk_add_f16 v41, v41, v88
	v_add_f16_e32 v43, v100, v98
	v_fma_f16 v88, v12, 0xbbc4, -v74
	v_fmac_f16_e32 v67, 0x388b, v12
	v_fmac_f16_e32 v84, 0xb9fd, v12
	;; [unrolled: 1-line block ×3, first 2 shown]
	v_pk_mul_f16 v12, 0x2fb7, v12 op_sel_hi:[0,1]
	v_pk_add_f16 v13, v13, v14
	v_pk_add_f16 v14, v81, v25 neg_lo:[0,1] neg_hi:[0,1]
	v_pk_add_f16 v25, v101, v35
	v_pack_b32_f16 v32, v45, v102
	v_bfi_b32 v33, 0xffff, v36, v44
	v_add_f16_e32 v42, v96, v42
	v_add_f16_e32 v43, v88, v43
	v_pk_add_f16 v29, v31, v29
	v_pk_fma_f16 v31, 0x3bf1, v11, v12 op_sel:[0,0,1] op_sel_hi:[0,1,0] neg_lo:[0,1,0] neg_hi:[0,1,0]
	v_pk_fma_f16 v11, 0x3bf1, v11, v12 op_sel:[0,0,1] op_sel_hi:[0,1,0]
	v_bfi_b32 v14, 0xffff, v14, v25
	v_pk_add_f16 v25, v32, v33
	v_add_f16_e32 v42, v99, v42
	v_alignbit_b32 v28, v82, v41, 16
	v_pack_b32_f16 v26, v43, v41
	v_pk_add_f16 v29, v31, v29
	v_pk_add_f16 v11, v11, v13
	v_add_f16_e32 v5, v67, v5
	v_pack_b32_f16 v27, v60, v48
	v_pack_b32_f16 v12, v70, v61
	v_add_f16_e32 v39, v84, v39
	v_pack_b32_f16 v4, v6, v4
	v_pk_add_f16 v6, v14, v25
	v_add_f16_e32 v42, v104, v42
	v_add_f16_e32 v30, v74, v38
	ds_write2_b32 v9, v26, v28 offset0:1 offset1:2
	ds_write2_b32 v9, v12, v27 offset0:3 offset1:4
	v_alignbit_b32 v12, v29, v11, 16
	v_alignbit_b32 v11, v11, v29, 16
	v_pack_b32_f16 v5, v5, v7
	v_pack_b32_f16 v7, v8, v34
	v_alignbit_b32 v8, v10, v6, 16
	v_pack_b32_f16 v6, v39, v6
	v_pack_b32_f16 v10, v30, v42
	ds_write2_b32 v9, v3, v4 offset1:5
	ds_write2_b32 v9, v11, v12 offset0:6 offset1:7
	ds_write2_b32 v9, v7, v5 offset0:8 offset1:9
	;; [unrolled: 1-line block ×3, first 2 shown]
	ds_write_b32 v9, v10 offset:48
.LBB0_17:
	s_or_b32 exec_lo, exec_lo, s9
	v_mul_i32_i24_e32 v3, 3, v24
	v_mov_b32_e32 v4, 0
	s_load_dwordx2 s[6:7], s[6:7], 0x0
	s_waitcnt lgkmcnt(0)
	s_barrier
	buffer_gl0_inv
	v_lshlrev_b64 v[3:4], 2, v[3:4]
	v_add_nc_u32_e32 v8, s4, v23
	ds_read_b32 v10, v0 offset:156
	ds_read_b32 v11, v22
	s_add_i32 s4, 0, 0xd00
	ds_read2_b32 v[6:7], v0 offset0:13 offset1:26
	v_add_co_u32 v3, vcc_lo, s24, v3
	v_add_co_ci_u32_e32 v4, vcc_lo, s25, v4, vcc_lo
	v_mul_lo_u32 v9, v8, v24
	v_mul_lo_u32 v8, v8, 13
	global_load_dwordx3 v[3:5], v[3:4], off
	v_and_b32_e32 v12, 63, v9
	v_lshrrev_b32_e32 v13, 4, v9
	v_lshrrev_b32_e32 v14, 10, v9
	v_add_nc_u32_e32 v9, v9, v8
	v_lshl_add_u32 v12, v12, 2, 0
	v_and_b32_e32 v13, 0xfc, v13
	v_and_b32_e32 v14, 0xfc, v14
	v_lshrrev_b32_e32 v23, 4, v9
	v_lshrrev_b32_e32 v24, 10, v9
	ds_read_b32 v12, v12 offset:3328
	v_and_b32_e32 v22, 63, v9
	v_add_nc_u32_e32 v9, v9, v8
	v_add_nc_u32_e32 v13, s4, v13
	v_and_b32_e32 v23, 0xfc, v23
	v_and_b32_e32 v24, 0xfc, v24
	v_add_nc_u32_e32 v14, s4, v14
	v_and_b32_e32 v28, 63, v9
	v_lshrrev_b32_e32 v29, 4, v9
	v_lshl_add_u32 v22, v22, 2, 0
	v_lshrrev_b32_e32 v30, 10, v9
	v_add_nc_u32_e32 v8, v9, v8
	v_add_nc_u32_e32 v9, s4, v23
	;; [unrolled: 1-line block ×3, first 2 shown]
	v_lshl_add_u32 v24, v28, 2, 0
	v_and_b32_e32 v28, 0xfc, v29
	ds_read_b32 v13, v13 offset:256
	ds_read_b32 v14, v14 offset:512
	;; [unrolled: 1-line block ×3, first 2 shown]
	v_and_b32_e32 v29, 0xfc, v30
	ds_read_b32 v9, v9 offset:256
	ds_read_b32 v23, v23 offset:512
	;; [unrolled: 1-line block ×3, first 2 shown]
	v_and_b32_e32 v30, 63, v8
	v_add_nc_u32_e32 v28, s4, v28
	v_lshrrev_b32_e32 v31, 4, v8
	v_lshrrev_b32_e32 v8, 10, v8
	v_add_nc_u32_e32 v29, s4, v29
	v_lshl_add_u32 v30, v30, 2, 0
	ds_read_b32 v28, v28 offset:256
	v_and_b32_e32 v31, 0xfc, v31
	v_and_b32_e32 v8, 0xfc, v8
	s_waitcnt lgkmcnt(7)
	v_lshrrev_b32_e32 v32, 16, v12
	ds_read_b32 v29, v29 offset:512
	ds_read_b32 v30, v30 offset:3328
	v_lshrrev_b32_e32 v25, 16, v6
	v_add_nc_u32_e32 v31, s4, v31
	v_add_nc_u32_e32 v8, s4, v8
	ds_read_b32 v31, v31 offset:256
	ds_read_b32 v8, v8 offset:512
	s_waitcnt lgkmcnt(10)
	v_mul_f16_sdwa v34, v12, v13 dst_sel:DWORD dst_unused:UNUSED_PAD src0_sel:DWORD src1_sel:WORD_1
	v_mul_f16_sdwa v35, v32, v13 dst_sel:DWORD dst_unused:UNUSED_PAD src0_sel:DWORD src1_sel:WORD_1
	s_waitcnt lgkmcnt(8)
	v_lshrrev_b32_e32 v36, 16, v22
	v_lshrrev_b32_e32 v26, 16, v7
	;; [unrolled: 1-line block ×3, first 2 shown]
	v_fmac_f16_e32 v34, v32, v13
	v_fma_f16 v12, v12, v13, -v35
	s_waitcnt lgkmcnt(7)
	v_mul_f16_sdwa v13, v36, v9 dst_sel:DWORD dst_unused:UNUSED_PAD src0_sel:DWORD src1_sel:WORD_1
	v_mul_f16_sdwa v32, v22, v9 dst_sel:DWORD dst_unused:UNUSED_PAD src0_sel:DWORD src1_sel:WORD_1
	s_waitcnt lgkmcnt(5)
	v_lshrrev_b32_e32 v35, 16, v24
	v_mul_f16_sdwa v37, v34, v14 dst_sel:DWORD dst_unused:UNUSED_PAD src0_sel:DWORD src1_sel:WORD_1
	v_mul_f16_sdwa v38, v12, v14 dst_sel:DWORD dst_unused:UNUSED_PAD src0_sel:DWORD src1_sel:WORD_1
	v_fma_f16 v13, v22, v9, -v13
	v_fmac_f16_e32 v32, v36, v9
	s_waitcnt lgkmcnt(4)
	v_mul_f16_sdwa v9, v35, v28 dst_sel:DWORD dst_unused:UNUSED_PAD src0_sel:DWORD src1_sel:WORD_1
	v_mul_f16_sdwa v22, v24, v28 dst_sel:DWORD dst_unused:UNUSED_PAD src0_sel:DWORD src1_sel:WORD_1
	s_waitcnt lgkmcnt(2)
	v_lshrrev_b32_e32 v36, 16, v30
	v_fma_f16 v12, v14, v12, -v37
	v_fmac_f16_e32 v38, v14, v34
	v_mul_f16_sdwa v14, v32, v23 dst_sel:DWORD dst_unused:UNUSED_PAD src0_sel:DWORD src1_sel:WORD_1
	v_fmac_f16_e32 v22, v35, v28
	v_fma_f16 v9, v24, v28, -v9
	v_mul_f16_sdwa v34, v13, v23 dst_sel:DWORD dst_unused:UNUSED_PAD src0_sel:DWORD src1_sel:WORD_1
	s_waitcnt lgkmcnt(1)
	v_mul_f16_sdwa v24, v30, v31 dst_sel:DWORD dst_unused:UNUSED_PAD src0_sel:DWORD src1_sel:WORD_1
	v_mul_f16_sdwa v28, v36, v31 dst_sel:DWORD dst_unused:UNUSED_PAD src0_sel:DWORD src1_sel:WORD_1
	v_fma_f16 v13, v23, v13, -v14
	v_mul_f16_sdwa v14, v22, v29 dst_sel:DWORD dst_unused:UNUSED_PAD src0_sel:DWORD src1_sel:WORD_1
	v_mul_f16_sdwa v35, v9, v29 dst_sel:DWORD dst_unused:UNUSED_PAD src0_sel:DWORD src1_sel:WORD_1
	v_fmac_f16_e32 v24, v36, v31
	v_fmac_f16_e32 v34, v23, v32
	v_fma_f16 v23, v30, v31, -v28
	v_fma_f16 v9, v29, v9, -v14
	v_fmac_f16_e32 v35, v29, v22
	v_lshrrev_b32_e32 v33, 16, v11
	s_waitcnt lgkmcnt(0)
	v_mul_f16_sdwa v14, v24, v8 dst_sel:DWORD dst_unused:UNUSED_PAD src0_sel:DWORD src1_sel:WORD_1
	s_waitcnt vmcnt(0)
	s_barrier
	buffer_gl0_inv
	v_fma_f16 v14, v8, v23, -v14
	v_mul_f16_sdwa v22, v3, v25 dst_sel:DWORD dst_unused:UNUSED_PAD src0_sel:WORD_1 src1_sel:DWORD
	v_mul_f16_sdwa v28, v3, v6 dst_sel:DWORD dst_unused:UNUSED_PAD src0_sel:WORD_1 src1_sel:DWORD
	v_mul_f16_sdwa v29, v4, v26 dst_sel:DWORD dst_unused:UNUSED_PAD src0_sel:WORD_1 src1_sel:DWORD
	v_mul_f16_sdwa v30, v4, v7 dst_sel:DWORD dst_unused:UNUSED_PAD src0_sel:WORD_1 src1_sel:DWORD
	v_mul_f16_sdwa v31, v5, v27 dst_sel:DWORD dst_unused:UNUSED_PAD src0_sel:WORD_1 src1_sel:DWORD
	v_mul_f16_sdwa v32, v5, v10 dst_sel:DWORD dst_unused:UNUSED_PAD src0_sel:WORD_1 src1_sel:DWORD
	v_fma_f16 v6, v3, v6, -v22
	v_fmac_f16_e32 v28, v3, v25
	v_fma_f16 v3, v4, v7, -v29
	v_fmac_f16_e32 v30, v4, v26
	;; [unrolled: 2-line block ×3, first 2 shown]
	v_mul_f16_sdwa v5, v23, v8 dst_sel:DWORD dst_unused:UNUSED_PAD src0_sel:DWORD src1_sel:WORD_1
	v_sub_f16_e32 v3, v11, v3
	v_sub_f16_e32 v7, v33, v30
	;; [unrolled: 1-line block ×4, first 2 shown]
	v_fmac_f16_e32 v5, v8, v24
	v_fma_f16 v11, v11, 2.0, -v3
	v_fma_f16 v22, v33, 2.0, -v7
	;; [unrolled: 1-line block ×4, first 2 shown]
	v_sub_f16_e32 v10, v3, v10
	v_add_f16_e32 v4, v7, v4
	v_sub_f16_e32 v6, v11, v6
	v_sub_f16_e32 v8, v22, v23
	v_fma_f16 v3, v3, 2.0, -v10
	v_fma_f16 v7, v7, 2.0, -v4
	v_mul_f16_e32 v23, v4, v5
	v_mul_f16_e32 v5, v10, v5
	v_fma_f16 v11, v11, 2.0, -v6
	v_fma_f16 v22, v22, 2.0, -v8
	v_mul_f16_e32 v26, v8, v35
	v_mul_f16_e32 v27, v6, v35
	;; [unrolled: 1-line block ×4, first 2 shown]
	v_fma_f16 v10, v10, v14, -v23
	v_fmac_f16_e32 v5, v4, v14
	v_mul_f16_e32 v4, v22, v38
	v_mul_f16_e32 v14, v11, v38
	v_fma_f16 v6, v6, v9, -v26
	v_fmac_f16_e32 v27, v8, v9
	v_fma_f16 v3, v3, v13, -v24
	v_fmac_f16_e32 v25, v7, v13
	;; [unrolled: 2-line block ×3, first 2 shown]
	v_pack_b32_f16 v5, v10, v5
	v_pack_b32_f16 v6, v6, v27
	;; [unrolled: 1-line block ×4, first 2 shown]
	ds_write2_b32 v0, v6, v5 offset0:26 offset1:39
	ds_write2_b32 v0, v4, v3 offset1:13
	s_waitcnt lgkmcnt(0)
	s_barrier
	buffer_gl0_inv
	s_and_saveexec_b32 s4, s5
	s_cbranch_execz .LBB0_19
; %bb.18:
	v_mad_u64_u32 v[3:4], null, s2, v18, 0
	v_mad_u64_u32 v[5:6], null, s0, v19, 0
	;; [unrolled: 1-line block ×3, first 2 shown]
	s_mul_i32 s4, s7, s8
	s_mul_hi_u32 s5, s6, s8
	v_mov_b32_e32 v0, v4
	s_mul_i32 s2, s6, s8
	v_mov_b32_e32 v4, v6
	v_add3_u32 v13, 0, v20, v21
	v_mad_u64_u32 v[9:10], null, s3, v18, v[0:1]
	v_mad_u64_u32 v[10:11], null, s1, v19, v[4:5]
	v_lshlrev_b64 v[1:2], 2, v[1:2]
	s_add_i32 s3, s5, s4
	v_mov_b32_e32 v0, v8
	s_lshl_b64 s[2:3], s[2:3], 2
	v_mov_b32_e32 v4, v9
	s_add_u32 s2, s18, s2
	v_mov_b32_e32 v6, v10
	v_mad_u64_u32 v[9:10], null, s0, v16, 0
	v_mad_u64_u32 v[11:12], null, s1, v17, v[0:1]
	v_add_co_u32 v12, vcc_lo, s2, v1
	v_lshlrev_b64 v[0:1], 2, v[3:4]
	v_mad_u64_u32 v[3:4], null, s0, v15, 0
	s_addc_u32 s3, s19, s3
	v_mov_b32_e32 v8, v11
	v_add_co_ci_u32_e32 v14, vcc_lo, s3, v2, vcc_lo
	v_mov_b32_e32 v2, v10
	v_lshlrev_b64 v[7:8], 2, v[7:8]
	v_mad_u64_u32 v[10:11], null, s1, v16, v[2:3]
	v_add_co_u32 v16, vcc_lo, v12, v0
	v_add_co_ci_u32_e32 v14, vcc_lo, v14, v1, vcc_lo
	v_lshlrev_b64 v[1:2], 2, v[5:6]
	v_mov_b32_e32 v0, v4
	ds_read2_b32 v[5:6], v13 offset1:13
	v_lshlrev_b64 v[9:10], 2, v[9:10]
	v_mad_u64_u32 v[11:12], null, s1, v15, v[0:1]
	ds_read2_b32 v[12:13], v13 offset0:26 offset1:39
	v_add_co_u32 v0, vcc_lo, v16, v1
	v_add_co_ci_u32_e32 v1, vcc_lo, v14, v2, vcc_lo
	v_add_co_u32 v7, vcc_lo, v16, v7
	v_mov_b32_e32 v4, v11
	v_add_co_ci_u32_e32 v8, vcc_lo, v14, v8, vcc_lo
	v_add_co_u32 v9, vcc_lo, v16, v9
	v_lshlrev_b64 v[2:3], 2, v[3:4]
	v_add_co_ci_u32_e32 v10, vcc_lo, v14, v10, vcc_lo
	v_add_co_u32 v2, vcc_lo, v16, v2
	v_add_co_ci_u32_e32 v3, vcc_lo, v14, v3, vcc_lo
	s_waitcnt lgkmcnt(1)
	global_store_dword v[0:1], v5, off
	global_store_dword v[7:8], v6, off
	s_waitcnt lgkmcnt(0)
	global_store_dword v[9:10], v12, off
	global_store_dword v[2:3], v13, off
.LBB0_19:
	s_endpgm
	.section	.rodata,"a",@progbits
	.p2align	6, 0x0
	.amdhsa_kernel fft_rtc_fwd_len52_factors_13_4_wgs_208_tpt_13_half_op_CI_CI_sbcc_twdbase6_3step
		.amdhsa_group_segment_fixed_size 0
		.amdhsa_private_segment_fixed_size 0
		.amdhsa_kernarg_size 112
		.amdhsa_user_sgpr_count 6
		.amdhsa_user_sgpr_private_segment_buffer 1
		.amdhsa_user_sgpr_dispatch_ptr 0
		.amdhsa_user_sgpr_queue_ptr 0
		.amdhsa_user_sgpr_kernarg_segment_ptr 1
		.amdhsa_user_sgpr_dispatch_id 0
		.amdhsa_user_sgpr_flat_scratch_init 0
		.amdhsa_user_sgpr_private_segment_size 0
		.amdhsa_wavefront_size32 1
		.amdhsa_uses_dynamic_stack 0
		.amdhsa_system_sgpr_private_segment_wavefront_offset 0
		.amdhsa_system_sgpr_workgroup_id_x 1
		.amdhsa_system_sgpr_workgroup_id_y 0
		.amdhsa_system_sgpr_workgroup_id_z 0
		.amdhsa_system_sgpr_workgroup_info 0
		.amdhsa_system_vgpr_workitem_id 0
		.amdhsa_next_free_vgpr 105
		.amdhsa_next_free_sgpr 53
		.amdhsa_reserve_vcc 1
		.amdhsa_reserve_flat_scratch 0
		.amdhsa_float_round_mode_32 0
		.amdhsa_float_round_mode_16_64 0
		.amdhsa_float_denorm_mode_32 3
		.amdhsa_float_denorm_mode_16_64 3
		.amdhsa_dx10_clamp 1
		.amdhsa_ieee_mode 1
		.amdhsa_fp16_overflow 0
		.amdhsa_workgroup_processor_mode 1
		.amdhsa_memory_ordered 1
		.amdhsa_forward_progress 0
		.amdhsa_shared_vgpr_count 0
		.amdhsa_exception_fp_ieee_invalid_op 0
		.amdhsa_exception_fp_denorm_src 0
		.amdhsa_exception_fp_ieee_div_zero 0
		.amdhsa_exception_fp_ieee_overflow 0
		.amdhsa_exception_fp_ieee_underflow 0
		.amdhsa_exception_fp_ieee_inexact 0
		.amdhsa_exception_int_div_zero 0
	.end_amdhsa_kernel
	.text
.Lfunc_end0:
	.size	fft_rtc_fwd_len52_factors_13_4_wgs_208_tpt_13_half_op_CI_CI_sbcc_twdbase6_3step, .Lfunc_end0-fft_rtc_fwd_len52_factors_13_4_wgs_208_tpt_13_half_op_CI_CI_sbcc_twdbase6_3step
                                        ; -- End function
	.section	.AMDGPU.csdata,"",@progbits
; Kernel info:
; codeLenInByte = 6316
; NumSgprs: 55
; NumVgprs: 105
; ScratchSize: 0
; MemoryBound: 0
; FloatMode: 240
; IeeeMode: 1
; LDSByteSize: 0 bytes/workgroup (compile time only)
; SGPRBlocks: 6
; VGPRBlocks: 13
; NumSGPRsForWavesPerEU: 55
; NumVGPRsForWavesPerEU: 105
; Occupancy: 9
; WaveLimiterHint : 1
; COMPUTE_PGM_RSRC2:SCRATCH_EN: 0
; COMPUTE_PGM_RSRC2:USER_SGPR: 6
; COMPUTE_PGM_RSRC2:TRAP_HANDLER: 0
; COMPUTE_PGM_RSRC2:TGID_X_EN: 1
; COMPUTE_PGM_RSRC2:TGID_Y_EN: 0
; COMPUTE_PGM_RSRC2:TGID_Z_EN: 0
; COMPUTE_PGM_RSRC2:TIDIG_COMP_CNT: 0
	.text
	.p2alignl 6, 3214868480
	.fill 48, 4, 3214868480
	.type	__hip_cuid_d18e34e364d2df07,@object ; @__hip_cuid_d18e34e364d2df07
	.section	.bss,"aw",@nobits
	.globl	__hip_cuid_d18e34e364d2df07
__hip_cuid_d18e34e364d2df07:
	.byte	0                               ; 0x0
	.size	__hip_cuid_d18e34e364d2df07, 1

	.ident	"AMD clang version 19.0.0git (https://github.com/RadeonOpenCompute/llvm-project roc-6.4.0 25133 c7fe45cf4b819c5991fe208aaa96edf142730f1d)"
	.section	".note.GNU-stack","",@progbits
	.addrsig
	.addrsig_sym __hip_cuid_d18e34e364d2df07
	.amdgpu_metadata
---
amdhsa.kernels:
  - .args:
      - .actual_access:  read_only
        .address_space:  global
        .offset:         0
        .size:           8
        .value_kind:     global_buffer
      - .address_space:  global
        .offset:         8
        .size:           8
        .value_kind:     global_buffer
      - .offset:         16
        .size:           8
        .value_kind:     by_value
      - .actual_access:  read_only
        .address_space:  global
        .offset:         24
        .size:           8
        .value_kind:     global_buffer
      - .actual_access:  read_only
        .address_space:  global
        .offset:         32
        .size:           8
        .value_kind:     global_buffer
      - .actual_access:  read_only
        .address_space:  global
        .offset:         40
        .size:           8
        .value_kind:     global_buffer
      - .offset:         48
        .size:           8
        .value_kind:     by_value
      - .actual_access:  read_only
        .address_space:  global
        .offset:         56
        .size:           8
        .value_kind:     global_buffer
      - .actual_access:  read_only
        .address_space:  global
        .offset:         64
        .size:           8
        .value_kind:     global_buffer
      - .offset:         72
        .size:           4
        .value_kind:     by_value
      - .actual_access:  read_only
        .address_space:  global
        .offset:         80
        .size:           8
        .value_kind:     global_buffer
      - .actual_access:  read_only
        .address_space:  global
        .offset:         88
        .size:           8
        .value_kind:     global_buffer
      - .actual_access:  read_only
        .address_space:  global
        .offset:         96
        .size:           8
        .value_kind:     global_buffer
      - .actual_access:  write_only
        .address_space:  global
        .offset:         104
        .size:           8
        .value_kind:     global_buffer
    .group_segment_fixed_size: 0
    .kernarg_segment_align: 8
    .kernarg_segment_size: 112
    .language:       OpenCL C
    .language_version:
      - 2
      - 0
    .max_flat_workgroup_size: 208
    .name:           fft_rtc_fwd_len52_factors_13_4_wgs_208_tpt_13_half_op_CI_CI_sbcc_twdbase6_3step
    .private_segment_fixed_size: 0
    .sgpr_count:     55
    .sgpr_spill_count: 0
    .symbol:         fft_rtc_fwd_len52_factors_13_4_wgs_208_tpt_13_half_op_CI_CI_sbcc_twdbase6_3step.kd
    .uniform_work_group_size: 1
    .uses_dynamic_stack: false
    .vgpr_count:     105
    .vgpr_spill_count: 0
    .wavefront_size: 32
    .workgroup_processor_mode: 1
amdhsa.target:   amdgcn-amd-amdhsa--gfx1030
amdhsa.version:
  - 1
  - 2
...

	.end_amdgpu_metadata
